;; amdgpu-corpus repo=ROCm/rocFFT kind=compiled arch=gfx1030 opt=O3
	.text
	.amdgcn_target "amdgcn-amd-amdhsa--gfx1030"
	.amdhsa_code_object_version 6
	.protected	fft_rtc_fwd_len72_factors_8_3_3_wgs_384_tpt_24_sp_ip_CI_sbcc ; -- Begin function fft_rtc_fwd_len72_factors_8_3_3_wgs_384_tpt_24_sp_ip_CI_sbcc
	.globl	fft_rtc_fwd_len72_factors_8_3_3_wgs_384_tpt_24_sp_ip_CI_sbcc
	.p2align	8
	.type	fft_rtc_fwd_len72_factors_8_3_3_wgs_384_tpt_24_sp_ip_CI_sbcc,@function
fft_rtc_fwd_len72_factors_8_3_3_wgs_384_tpt_24_sp_ip_CI_sbcc: ; @fft_rtc_fwd_len72_factors_8_3_3_wgs_384_tpt_24_sp_ip_CI_sbcc
; %bb.0:
	s_load_dwordx4 s[8:11], s[4:5], 0x18
	s_mov_b32 s7, 0
	s_mov_b64 s[22:23], 0
	s_waitcnt lgkmcnt(0)
	s_load_dwordx2 s[14:15], s[8:9], 0x8
	s_waitcnt lgkmcnt(0)
	s_add_u32 s0, s14, -1
	s_addc_u32 s1, s15, -1
	s_lshr_b64 s[0:1], s[0:1], 4
	s_add_u32 s16, s0, 1
	s_addc_u32 s17, s1, 0
	v_cmp_lt_u64_e64 s0, s[6:7], s[16:17]
	s_and_b32 vcc_lo, exec_lo, s0
	s_cbranch_vccnz .LBB0_2
; %bb.1:
	v_cvt_f32_u32_e32 v1, s16
	s_sub_i32 s1, 0, s16
	s_mov_b32 s23, s7
	v_rcp_iflag_f32_e32 v1, v1
	v_mul_f32_e32 v1, 0x4f7ffffe, v1
	v_cvt_u32_f32_e32 v1, v1
	v_readfirstlane_b32 s0, v1
	s_mul_i32 s1, s1, s0
	s_mul_hi_u32 s1, s0, s1
	s_add_i32 s0, s0, s1
	s_mul_hi_u32 s0, s6, s0
	s_mul_i32 s1, s0, s16
	s_add_i32 s2, s0, 1
	s_sub_i32 s1, s6, s1
	s_sub_i32 s3, s1, s16
	s_cmp_ge_u32 s1, s16
	s_cselect_b32 s0, s2, s0
	s_cselect_b32 s1, s3, s1
	s_add_i32 s2, s0, 1
	s_cmp_ge_u32 s1, s16
	s_cselect_b32 s22, s2, s0
.LBB0_2:
	s_load_dwordx4 s[0:3], s[10:11], 0x0
	s_load_dwordx2 s[20:21], s[4:5], 0x10
	s_mul_i32 s12, s22, s17
	s_mul_hi_u32 s13, s22, s16
	s_mul_i32 s18, s22, s16
	s_add_i32 s13, s13, s12
	s_sub_u32 s18, s6, s18
	s_subb_u32 s19, 0, s13
	s_clause 0x1
	s_load_dwordx2 s[12:13], s[4:5], 0x58
	s_load_dwordx2 s[4:5], s[4:5], 0x0
	v_alignbit_b32 v1, s19, s18, 28
	s_lshl_b64 s[18:19], s[18:19], 4
	s_waitcnt lgkmcnt(0)
	v_mul_lo_u32 v1, s2, v1
	s_mul_hi_u32 s24, s2, s18
	v_cmp_lt_u64_e64 s25, s[20:21], 3
	s_mul_i32 s26, s3, s18
	s_and_b32 vcc_lo, exec_lo, s25
	v_add_nc_u32_e32 v2, s24, v1
	s_mul_i32 s24, s2, s18
	v_mov_b32_e32 v1, s24
	v_add_nc_u32_e32 v2, s26, v2
	s_cbranch_vccnz .LBB0_11
; %bb.3:
	s_add_u32 s24, s10, 16
	s_addc_u32 s25, s11, 0
	s_add_u32 s8, s8, 16
	s_addc_u32 s9, s9, 0
	s_mov_b64 s[26:27], 2
	s_mov_b32 s28, 0
	s_branch .LBB0_5
.LBB0_4:                                ;   in Loop: Header=BB0_5 Depth=1
	s_load_dwordx2 s[36:37], s[24:25], 0x0
	s_mul_i32 s17, s30, s17
	s_mul_hi_u32 s29, s30, s16
	s_mul_i32 s33, s31, s16
	s_mul_i32 s31, s34, s31
	s_mul_hi_u32 s38, s34, s30
	s_mul_i32 s39, s35, s30
	s_add_i32 s17, s29, s17
	s_add_i32 s29, s38, s31
	s_mul_i32 s40, s34, s30
	s_add_i32 s17, s17, s33
	s_add_i32 s29, s29, s39
	s_sub_u32 s22, s22, s40
	s_subb_u32 s23, s23, s29
	s_mul_i32 s16, s30, s16
	s_waitcnt lgkmcnt(0)
	s_mul_i32 s23, s36, s23
	s_mul_hi_u32 s29, s36, s22
	s_mul_i32 s31, s37, s22
	s_add_i32 s23, s29, s23
	s_mul_i32 s22, s36, s22
	s_add_i32 s23, s23, s31
	s_add_u32 s26, s26, 1
	s_addc_u32 s27, s27, 0
	v_add_co_u32 v1, vcc_lo, s22, v1
	v_cmp_ge_u64_e64 s29, s[26:27], s[20:21]
	v_add_co_ci_u32_e32 v2, vcc_lo, s23, v2, vcc_lo
	s_add_u32 s24, s24, 8
	s_addc_u32 s25, s25, 0
	s_add_u32 s8, s8, 8
	s_addc_u32 s9, s9, 0
	s_and_b32 vcc_lo, exec_lo, s29
	s_mov_b64 s[22:23], s[34:35]
	s_cbranch_vccnz .LBB0_9
.LBB0_5:                                ; =>This Inner Loop Header: Depth=1
	s_load_dwordx2 s[30:31], s[8:9], 0x0
	s_waitcnt lgkmcnt(0)
	s_or_b64 s[34:35], s[22:23], s[30:31]
	s_mov_b32 s29, s35
                                        ; implicit-def: $sgpr34_sgpr35
	s_cmp_lg_u64 s[28:29], 0
	s_mov_b32 s29, -1
	s_cbranch_scc0 .LBB0_7
; %bb.6:                                ;   in Loop: Header=BB0_5 Depth=1
	v_cvt_f32_u32_e32 v3, s30
	v_cvt_f32_u32_e32 v4, s31
	s_sub_u32 s34, 0, s30
	s_subb_u32 s35, 0, s31
	v_fmac_f32_e32 v3, 0x4f800000, v4
	v_rcp_f32_e32 v3, v3
	v_mul_f32_e32 v3, 0x5f7ffffc, v3
	v_mul_f32_e32 v4, 0x2f800000, v3
	v_trunc_f32_e32 v4, v4
	v_fmac_f32_e32 v3, 0xcf800000, v4
	v_cvt_u32_f32_e32 v4, v4
	v_cvt_u32_f32_e32 v3, v3
	v_readfirstlane_b32 s29, v4
	v_readfirstlane_b32 s33, v3
	s_mul_i32 s36, s34, s29
	s_mul_hi_u32 s38, s34, s33
	s_mul_i32 s37, s35, s33
	s_add_i32 s36, s38, s36
	s_mul_i32 s39, s34, s33
	s_add_i32 s36, s36, s37
	s_mul_hi_u32 s38, s33, s39
	s_mul_hi_u32 s40, s29, s39
	s_mul_i32 s37, s29, s39
	s_mul_hi_u32 s39, s33, s36
	s_mul_i32 s33, s33, s36
	s_mul_hi_u32 s41, s29, s36
	s_add_u32 s33, s38, s33
	s_addc_u32 s38, 0, s39
	s_add_u32 s33, s33, s37
	s_mul_i32 s36, s29, s36
	s_addc_u32 s33, s38, s40
	s_addc_u32 s37, s41, 0
	s_add_u32 s33, s33, s36
	s_addc_u32 s36, 0, s37
	v_add_co_u32 v3, s33, v3, s33
	s_cmp_lg_u32 s33, 0
	s_addc_u32 s29, s29, s36
	v_readfirstlane_b32 s33, v3
	s_mul_i32 s36, s34, s29
	s_mul_hi_u32 s37, s34, s33
	s_mul_i32 s35, s35, s33
	s_add_i32 s36, s37, s36
	s_mul_i32 s34, s34, s33
	s_add_i32 s36, s36, s35
	s_mul_hi_u32 s37, s29, s34
	s_mul_i32 s38, s29, s34
	s_mul_hi_u32 s34, s33, s34
	s_mul_hi_u32 s39, s33, s36
	s_mul_i32 s33, s33, s36
	s_mul_hi_u32 s35, s29, s36
	s_add_u32 s33, s34, s33
	s_addc_u32 s34, 0, s39
	s_add_u32 s33, s33, s38
	s_mul_i32 s36, s29, s36
	s_addc_u32 s33, s34, s37
	s_addc_u32 s34, s35, 0
	s_add_u32 s33, s33, s36
	s_addc_u32 s34, 0, s34
	v_add_co_u32 v3, s33, v3, s33
	s_cmp_lg_u32 s33, 0
	s_addc_u32 s29, s29, s34
	v_readfirstlane_b32 s33, v3
	s_mul_i32 s35, s22, s29
	s_mul_hi_u32 s34, s22, s29
	s_mul_hi_u32 s36, s23, s29
	s_mul_i32 s29, s23, s29
	s_mul_hi_u32 s37, s22, s33
	s_mul_hi_u32 s38, s23, s33
	s_mul_i32 s33, s23, s33
	s_add_u32 s35, s37, s35
	s_addc_u32 s34, 0, s34
	s_add_u32 s33, s35, s33
	s_addc_u32 s33, s34, s38
	s_addc_u32 s34, s36, 0
	s_add_u32 s33, s33, s29
	s_addc_u32 s34, 0, s34
	s_mul_hi_u32 s29, s30, s33
	s_mul_i32 s36, s30, s34
	s_mul_i32 s37, s30, s33
	s_add_i32 s29, s29, s36
	v_sub_co_u32 v3, s36, s22, s37
	s_mul_i32 s35, s31, s33
	s_add_i32 s29, s29, s35
	v_sub_co_u32 v4, s37, v3, s30
	s_sub_i32 s35, s23, s29
	s_cmp_lg_u32 s36, 0
	s_subb_u32 s35, s35, s31
	s_cmp_lg_u32 s37, 0
	v_readfirstlane_b32 s37, v4
	s_subb_u32 s35, s35, 0
	s_cmp_ge_u32 s35, s31
	s_cselect_b32 s38, -1, 0
	s_cmp_ge_u32 s37, s30
	s_cselect_b32 s37, -1, 0
	s_cmp_eq_u32 s35, s31
	s_cselect_b32 s35, s37, s38
	s_add_u32 s37, s33, 1
	s_addc_u32 s38, s34, 0
	s_add_u32 s39, s33, 2
	s_addc_u32 s40, s34, 0
	s_cmp_lg_u32 s35, 0
	s_cselect_b32 s37, s39, s37
	s_cselect_b32 s35, s40, s38
	s_cmp_lg_u32 s36, 0
	v_readfirstlane_b32 s36, v3
	s_subb_u32 s29, s23, s29
	s_cmp_ge_u32 s29, s31
	s_cselect_b32 s38, -1, 0
	s_cmp_ge_u32 s36, s30
	s_cselect_b32 s36, -1, 0
	s_cmp_eq_u32 s29, s31
	s_cselect_b32 s29, s36, s38
	s_cmp_lg_u32 s29, 0
	s_mov_b32 s29, 0
	s_cselect_b32 s35, s35, s34
	s_cselect_b32 s34, s37, s33
.LBB0_7:                                ;   in Loop: Header=BB0_5 Depth=1
	s_andn2_b32 vcc_lo, exec_lo, s29
	s_cbranch_vccnz .LBB0_4
; %bb.8:                                ;   in Loop: Header=BB0_5 Depth=1
	v_cvt_f32_u32_e32 v3, s30
	s_sub_i32 s33, 0, s30
	v_rcp_iflag_f32_e32 v3, v3
	v_mul_f32_e32 v3, 0x4f7ffffe, v3
	v_cvt_u32_f32_e32 v3, v3
	v_readfirstlane_b32 s29, v3
	s_mul_i32 s33, s33, s29
	s_mul_hi_u32 s33, s29, s33
	s_add_i32 s29, s29, s33
	s_mul_hi_u32 s29, s22, s29
	s_mul_i32 s33, s29, s30
	s_add_i32 s34, s29, 1
	s_sub_i32 s33, s22, s33
	s_sub_i32 s35, s33, s30
	s_cmp_ge_u32 s33, s30
	s_cselect_b32 s29, s34, s29
	s_cselect_b32 s33, s35, s33
	s_add_i32 s34, s29, 1
	s_cmp_ge_u32 s33, s30
	s_mov_b32 s35, s28
	s_cselect_b32 s34, s34, s29
	s_branch .LBB0_4
.LBB0_9:
	v_cmp_lt_u64_e64 s7, s[6:7], s[16:17]
	s_mov_b64 s[22:23], 0
	s_and_b32 vcc_lo, exec_lo, s7
	s_cbranch_vccnz .LBB0_11
; %bb.10:
	v_cvt_f32_u32_e32 v3, s16
	s_sub_i32 s8, 0, s16
	v_rcp_iflag_f32_e32 v3, v3
	v_mul_f32_e32 v3, 0x4f7ffffe, v3
	v_cvt_u32_f32_e32 v3, v3
	v_readfirstlane_b32 s7, v3
	s_mul_i32 s8, s8, s7
	s_mul_hi_u32 s8, s7, s8
	s_add_i32 s7, s7, s8
	s_mul_hi_u32 s7, s6, s7
	s_mul_i32 s8, s7, s16
	s_sub_i32 s6, s6, s8
	s_add_i32 s8, s7, 1
	s_sub_i32 s9, s6, s16
	s_cmp_ge_u32 s6, s16
	s_cselect_b32 s7, s8, s7
	s_cselect_b32 s6, s9, s6
	s_add_i32 s8, s7, 1
	s_cmp_ge_u32 s6, s16
	s_cselect_b32 s22, s8, s7
.LBB0_11:
	s_lshl_b64 s[6:7], s[20:21], 3
	v_and_b32_e32 v19, 15, v0
	s_add_u32 s6, s10, s6
	s_addc_u32 s7, s11, s7
	v_mov_b32_e32 v4, s19
	s_load_dwordx2 s[6:7], s[6:7], 0x0
	v_or_b32_e32 v3, s18, v19
	v_lshrrev_b32_e32 v18, 4, v0
	v_mul_u32_u24_e32 v22, 0x240, v19
	v_lshlrev_b32_e32 v23, 3, v18
	v_add_nc_u32_e32 v21, 24, v18
	v_add_nc_u32_e32 v20, 48, v18
	s_waitcnt lgkmcnt(0)
	s_mul_i32 s7, s7, s22
	s_mul_hi_u32 s8, s6, s22
	s_mul_i32 s6, s6, s22
	s_add_i32 s8, s8, s7
	v_add_co_u32 v1, vcc_lo, s6, v1
	v_add_co_ci_u32_e32 v2, vcc_lo, s8, v2, vcc_lo
	s_add_u32 s6, s18, 16
	s_addc_u32 s7, s19, 0
	v_cmp_gt_u64_e32 vcc_lo, s[14:15], v[3:4]
	v_cmp_le_u64_e64 s6, s[6:7], s[14:15]
	v_lshlrev_b64 v[12:13], 3, v[1:2]
	s_or_b32 s6, s6, vcc_lo
	s_and_saveexec_b32 s7, s6
	s_cbranch_execz .LBB0_13
; %bb.12:
	v_mad_u64_u32 v[1:2], null, s2, v19, 0
	v_mad_u64_u32 v[3:4], null, s0, v18, 0
	v_mad_u64_u32 v[5:6], null, s0, v21, 0
	v_mad_u64_u32 v[7:8], null, s0, v20, 0
	v_mad_u64_u32 v[9:10], null, s3, v19, v[2:3]
	v_mad_u64_u32 v[10:11], null, s1, v18, v[4:5]
	v_mov_b32_e32 v4, v8
	v_mov_b32_e32 v2, v9
	v_mad_u64_u32 v[8:9], null, s1, v21, v[6:7]
	v_mad_u64_u32 v[14:15], null, s1, v20, v[4:5]
	v_mov_b32_e32 v4, v10
	v_lshlrev_b64 v[1:2], 3, v[1:2]
	v_add_co_u32 v9, vcc_lo, s12, v12
	v_add_co_ci_u32_e32 v10, vcc_lo, s13, v13, vcc_lo
	v_mov_b32_e32 v6, v8
	v_lshlrev_b64 v[3:4], 3, v[3:4]
	v_mov_b32_e32 v8, v14
	v_add_co_u32 v9, vcc_lo, v9, v1
	v_add_co_ci_u32_e32 v10, vcc_lo, v10, v2, vcc_lo
	v_lshlrev_b64 v[1:2], 3, v[5:6]
	v_add_co_u32 v3, vcc_lo, v9, v3
	v_lshlrev_b64 v[5:6], 3, v[7:8]
	v_add_co_ci_u32_e32 v4, vcc_lo, v10, v4, vcc_lo
	v_add_co_u32 v1, vcc_lo, v9, v1
	v_add_co_ci_u32_e32 v2, vcc_lo, v10, v2, vcc_lo
	v_add_co_u32 v5, vcc_lo, v9, v5
	v_add_co_ci_u32_e32 v6, vcc_lo, v10, v6, vcc_lo
	s_clause 0x2
	global_load_dwordx2 v[3:4], v[3:4], off
	global_load_dwordx2 v[1:2], v[1:2], off
	;; [unrolled: 1-line block ×3, first 2 shown]
	v_add3_u32 v7, 0, v22, v23
	s_waitcnt vmcnt(1)
	ds_write2_b64 v7, v[3:4], v[1:2] offset1:24
	s_waitcnt vmcnt(0)
	ds_write_b64 v7, v[5:6] offset:384
.LBB0_13:
	s_or_b32 exec_lo, exec_lo, s7
	v_mov_b32_e32 v1, 0xaaab
	v_mov_b32_e32 v28, 3
	s_waitcnt lgkmcnt(0)
	s_barrier
	buffer_gl0_inv
	v_mul_u32_u24_sdwa v1, v0, v1 dst_sel:DWORD dst_unused:UNUSED_PAD src0_sel:WORD_0 src1_sel:DWORD
	s_mov_b32 s7, exec_lo
	v_lshrrev_b32_e32 v1, 20, v1
	v_mul_lo_u16 v2, v1, 24
	v_and_b32_e32 v1, 15, v1
	v_sub_nc_u16 v26, v0, v2
	v_mul_lo_u16 v0, 0x48, v1
	v_lshlrev_b32_sdwa v1, v28, v26 dst_sel:DWORD dst_unused:UNUSED_PAD src0_sel:DWORD src1_sel:WORD_0
	v_lshlrev_b32_sdwa v27, v28, v0 dst_sel:DWORD dst_unused:UNUSED_PAD src0_sel:DWORD src1_sel:WORD_0
	v_add_nc_u32_e32 v29, 0, v1
	v_add3_u32 v25, 0, v27, v1
	v_add_nc_u32_e32 v24, v29, v27
	ds_read2_b64 v[0:3], v24 offset0:9 offset1:18
	ds_read2_b64 v[4:7], v24 offset0:27 offset1:36
	;; [unrolled: 1-line block ×3, first 2 shown]
	ds_read_b64 v[14:15], v25
	ds_read_b64 v[16:17], v24 offset:504
	s_waitcnt lgkmcnt(0)
	s_barrier
	buffer_gl0_inv
	v_cmpx_gt_u16_e32 9, v26
	s_cbranch_execz .LBB0_15
; %bb.14:
	v_sub_f32_e32 v10, v2, v10
	v_sub_f32_e32 v30, v15, v7
	;; [unrolled: 1-line block ×6, first 2 shown]
	v_add_f32_e32 v31, v30, v10
	v_sub_f32_e32 v33, v14, v6
	v_add_f32_e32 v32, v9, v16
	v_sub_f32_e32 v6, v3, v11
	v_sub_f32_e32 v11, v8, v17
	v_fma_f32 v15, v15, 2.0, -v30
	v_fma_f32 v35, v0, 2.0, -v8
	v_fmamk_f32 v7, v32, 0x3f3504f3, v31
	v_sub_f32_e32 v34, v33, v6
	v_fma_f32 v3, v3, 2.0, -v6
	v_fma_f32 v0, v4, 2.0, -v16
	;; [unrolled: 1-line block ×3, first 2 shown]
	v_fmac_f32_e32 v7, 0x3f3504f3, v11
	v_fmamk_f32 v6, v11, 0x3f3504f3, v34
	v_sub_f32_e32 v4, v15, v3
	v_sub_f32_e32 v16, v35, v0
	v_fma_f32 v0, v2, 2.0, -v10
	v_fma_f32 v10, v1, 2.0, -v9
	;; [unrolled: 1-line block ×4, first 2 shown]
	v_fmac_f32_e32 v6, 0xbf3504f3, v32
	v_add_f32_e32 v3, v4, v16
	v_sub_f32_e32 v36, v14, v0
	v_sub_f32_e32 v17, v10, v2
	v_fma_f32 v30, v30, 2.0, -v31
	v_fma_f32 v11, v8, 2.0, -v11
	;; [unrolled: 1-line block ×7, first 2 shown]
	v_fmamk_f32 v9, v31, 0xbf3504f3, v30
	v_fmamk_f32 v8, v11, 0xbf3504f3, v32
	v_fma_f32 v33, v14, 2.0, -v36
	v_fma_f32 v14, v35, 2.0, -v16
	v_mov_b32_e32 v15, 56
	v_fmac_f32_e32 v9, 0x3f3504f3, v11
	v_fmac_f32_e32 v8, 0xbf3504f3, v31
	v_sub_f32_e32 v11, v4, v10
	v_sub_f32_e32 v10, v33, v14
	v_mul_u32_u24_sdwa v31, v26, v15 dst_sel:DWORD dst_unused:UNUSED_PAD src0_sel:WORD_0 src1_sel:DWORD
	v_sub_f32_e32 v2, v36, v17
	v_fma_f32 v15, v30, 2.0, -v9
	v_fma_f32 v14, v32, 2.0, -v8
	v_fma_f32 v17, v4, 2.0, -v11
	v_fma_f32 v16, v33, 2.0, -v10
	v_add3_u32 v29, v29, v31, v27
	v_fma_f32 v0, v34, 2.0, -v6
	v_fma_f32 v4, v36, 2.0, -v2
	ds_write2_b64 v29, v[16:17], v[14:15] offset1:1
	ds_write2_b64 v29, v[4:5], v[0:1] offset0:2 offset1:3
	ds_write2_b64 v29, v[10:11], v[8:9] offset0:4 offset1:5
	;; [unrolled: 1-line block ×3, first 2 shown]
.LBB0_15:
	s_or_b32 exec_lo, exec_lo, s7
	v_mov_b32_e32 v0, 7
	s_waitcnt lgkmcnt(0)
	s_barrier
	buffer_gl0_inv
	ds_read2_b64 v[4:7], v24 offset0:24 offset1:48
	v_and_b32_sdwa v10, v26, v0 dst_sel:DWORD dst_unused:UNUSED_PAD src0_sel:WORD_0 src1_sel:DWORD
	v_lshrrev_b32_sdwa v11, v28, v26 dst_sel:DWORD dst_unused:UNUSED_PAD src0_sel:DWORD src1_sel:WORD_0
	ds_read_b64 v[8:9], v25
	v_mov_b32_e32 v14, 4
	v_lshlrev_b32_e32 v0, 4, v10
	v_mul_u32_u24_e32 v11, 24, v11
	global_load_dwordx4 v[0:3], v0, s[4:5]
	v_or_b32_e32 v10, v11, v10
	s_waitcnt vmcnt(0) lgkmcnt(0)
	s_barrier
	buffer_gl0_inv
	v_lshlrev_b32_e32 v10, 3, v10
	v_mul_f32_e32 v11, v1, v5
	v_mul_f32_e32 v15, v3, v7
	;; [unrolled: 1-line block ×4, first 2 shown]
	v_fma_f32 v0, v0, v4, -v11
	v_fma_f32 v6, v2, v6, -v15
	v_fmac_f32_e32 v5, v1, v4
	v_fmac_f32_e32 v3, v2, v7
	v_add3_u32 v7, 0, v10, v27
	v_lshlrev_b32_sdwa v4, v14, v26 dst_sel:DWORD dst_unused:UNUSED_PAD src0_sel:DWORD src1_sel:WORD_0
	v_add_f32_e32 v1, v0, v6
	v_add_f32_e32 v2, v0, v8
	;; [unrolled: 1-line block ×3, first 2 shown]
	v_sub_f32_e32 v11, v5, v3
	v_add_f32_e32 v5, v5, v9
	v_fma_f32 v8, -0.5, v1, v8
	v_sub_f32_e32 v14, v0, v6
	v_fmac_f32_e32 v9, -0.5, v10
	v_add_f32_e32 v0, v2, v6
	v_add_f32_e32 v1, v5, v3
	v_fmamk_f32 v2, v11, 0x3f5db3d7, v8
	v_fmac_f32_e32 v8, 0xbf5db3d7, v11
	v_fmamk_f32 v3, v14, 0xbf5db3d7, v9
	v_fmac_f32_e32 v9, 0x3f5db3d7, v14
	ds_write2_b64 v7, v[0:1], v[2:3] offset1:8
	ds_write_b64 v7, v[8:9] offset:128
	s_waitcnt lgkmcnt(0)
	s_barrier
	buffer_gl0_inv
	global_load_dwordx4 v[0:3], v4, s[4:5] offset:128
	ds_read2_b64 v[4:7], v24 offset0:24 offset1:48
	ds_read_b64 v[8:9], v25
	s_waitcnt vmcnt(0) lgkmcnt(0)
	s_barrier
	buffer_gl0_inv
	v_mul_f32_e32 v10, v1, v5
	v_mul_f32_e32 v11, v3, v7
	;; [unrolled: 1-line block ×4, first 2 shown]
	v_fma_f32 v0, v0, v4, -v10
	v_fma_f32 v6, v2, v6, -v11
	v_fmac_f32_e32 v5, v1, v4
	v_fmac_f32_e32 v3, v2, v7
	v_add_f32_e32 v2, v0, v8
	v_add_f32_e32 v1, v0, v6
	v_sub_f32_e32 v10, v0, v6
	v_add_f32_e32 v4, v5, v3
	v_sub_f32_e32 v7, v5, v3
	v_add_f32_e32 v5, v5, v9
	v_fma_f32 v8, -0.5, v1, v8
	v_add_f32_e32 v0, v2, v6
	v_fmac_f32_e32 v9, -0.5, v4
	v_add_f32_e32 v1, v5, v3
	v_fmamk_f32 v2, v7, 0x3f5db3d7, v8
	v_fmac_f32_e32 v8, 0xbf5db3d7, v7
	v_fmamk_f32 v3, v10, 0xbf5db3d7, v9
	v_fmac_f32_e32 v9, 0x3f5db3d7, v10
	ds_write2_b64 v24, v[0:1], v[2:3] offset1:24
	ds_write_b64 v24, v[8:9] offset:384
	s_waitcnt lgkmcnt(0)
	s_barrier
	buffer_gl0_inv
	s_and_saveexec_b32 s4, s6
	s_cbranch_execz .LBB0_17
; %bb.16:
	v_mad_u64_u32 v[4:5], null, s2, v19, 0
	v_mad_u64_u32 v[6:7], null, s0, v18, 0
	;; [unrolled: 1-line block ×4, first 2 shown]
	v_mov_b32_e32 v0, v5
	v_add3_u32 v17, 0, v22, v23
	v_mov_b32_e32 v1, v7
	v_mad_u64_u32 v[2:3], null, s3, v19, v[0:1]
	v_mov_b32_e32 v0, v9
	v_mov_b32_e32 v9, v11
	;; [unrolled: 1-line block ×3, first 2 shown]
	v_mad_u64_u32 v[14:15], null, s1, v18, v[1:2]
	v_mad_u64_u32 v[15:16], null, s1, v21, v[0:1]
	v_lshlrev_b64 v[4:5], 3, v[4:5]
	v_add_co_u32 v16, vcc_lo, s12, v12
	v_add_co_ci_u32_e32 v13, vcc_lo, s13, v13, vcc_lo
	v_mov_b32_e32 v7, v14
	v_mad_u64_u32 v[11:12], null, s1, v20, v[9:10]
	ds_read2_b64 v[0:3], v17 offset1:24
	v_add_co_u32 v12, vcc_lo, v16, v4
	v_mov_b32_e32 v9, v15
	v_add_co_ci_u32_e32 v13, vcc_lo, v13, v5, vcc_lo
	ds_read_b64 v[4:5], v17 offset:384
	v_lshlrev_b64 v[6:7], 3, v[6:7]
	v_lshlrev_b64 v[8:9], 3, v[8:9]
	;; [unrolled: 1-line block ×3, first 2 shown]
	v_add_co_u32 v6, vcc_lo, v12, v6
	v_add_co_ci_u32_e32 v7, vcc_lo, v13, v7, vcc_lo
	v_add_co_u32 v8, vcc_lo, v12, v8
	v_add_co_ci_u32_e32 v9, vcc_lo, v13, v9, vcc_lo
	;; [unrolled: 2-line block ×3, first 2 shown]
	s_waitcnt lgkmcnt(1)
	global_store_dwordx2 v[6:7], v[0:1], off
	global_store_dwordx2 v[8:9], v[2:3], off
	s_waitcnt lgkmcnt(0)
	global_store_dwordx2 v[10:11], v[4:5], off
.LBB0_17:
	s_endpgm
	.section	.rodata,"a",@progbits
	.p2align	6, 0x0
	.amdhsa_kernel fft_rtc_fwd_len72_factors_8_3_3_wgs_384_tpt_24_sp_ip_CI_sbcc
		.amdhsa_group_segment_fixed_size 0
		.amdhsa_private_segment_fixed_size 0
		.amdhsa_kernarg_size 96
		.amdhsa_user_sgpr_count 6
		.amdhsa_user_sgpr_private_segment_buffer 1
		.amdhsa_user_sgpr_dispatch_ptr 0
		.amdhsa_user_sgpr_queue_ptr 0
		.amdhsa_user_sgpr_kernarg_segment_ptr 1
		.amdhsa_user_sgpr_dispatch_id 0
		.amdhsa_user_sgpr_flat_scratch_init 0
		.amdhsa_user_sgpr_private_segment_size 0
		.amdhsa_wavefront_size32 1
		.amdhsa_uses_dynamic_stack 0
		.amdhsa_system_sgpr_private_segment_wavefront_offset 0
		.amdhsa_system_sgpr_workgroup_id_x 1
		.amdhsa_system_sgpr_workgroup_id_y 0
		.amdhsa_system_sgpr_workgroup_id_z 0
		.amdhsa_system_sgpr_workgroup_info 0
		.amdhsa_system_vgpr_workitem_id 0
		.amdhsa_next_free_vgpr 37
		.amdhsa_next_free_sgpr 42
		.amdhsa_reserve_vcc 1
		.amdhsa_reserve_flat_scratch 0
		.amdhsa_float_round_mode_32 0
		.amdhsa_float_round_mode_16_64 0
		.amdhsa_float_denorm_mode_32 3
		.amdhsa_float_denorm_mode_16_64 3
		.amdhsa_dx10_clamp 1
		.amdhsa_ieee_mode 1
		.amdhsa_fp16_overflow 0
		.amdhsa_workgroup_processor_mode 1
		.amdhsa_memory_ordered 1
		.amdhsa_forward_progress 0
		.amdhsa_shared_vgpr_count 0
		.amdhsa_exception_fp_ieee_invalid_op 0
		.amdhsa_exception_fp_denorm_src 0
		.amdhsa_exception_fp_ieee_div_zero 0
		.amdhsa_exception_fp_ieee_overflow 0
		.amdhsa_exception_fp_ieee_underflow 0
		.amdhsa_exception_fp_ieee_inexact 0
		.amdhsa_exception_int_div_zero 0
	.end_amdhsa_kernel
	.text
.Lfunc_end0:
	.size	fft_rtc_fwd_len72_factors_8_3_3_wgs_384_tpt_24_sp_ip_CI_sbcc, .Lfunc_end0-fft_rtc_fwd_len72_factors_8_3_3_wgs_384_tpt_24_sp_ip_CI_sbcc
                                        ; -- End function
	.section	.AMDGPU.csdata,"",@progbits
; Kernel info:
; codeLenInByte = 2820
; NumSgprs: 44
; NumVgprs: 37
; ScratchSize: 0
; MemoryBound: 0
; FloatMode: 240
; IeeeMode: 1
; LDSByteSize: 0 bytes/workgroup (compile time only)
; SGPRBlocks: 5
; VGPRBlocks: 4
; NumSGPRsForWavesPerEU: 44
; NumVGPRsForWavesPerEU: 37
; Occupancy: 15
; WaveLimiterHint : 1
; COMPUTE_PGM_RSRC2:SCRATCH_EN: 0
; COMPUTE_PGM_RSRC2:USER_SGPR: 6
; COMPUTE_PGM_RSRC2:TRAP_HANDLER: 0
; COMPUTE_PGM_RSRC2:TGID_X_EN: 1
; COMPUTE_PGM_RSRC2:TGID_Y_EN: 0
; COMPUTE_PGM_RSRC2:TGID_Z_EN: 0
; COMPUTE_PGM_RSRC2:TIDIG_COMP_CNT: 0
	.text
	.p2alignl 6, 3214868480
	.fill 48, 4, 3214868480
	.type	__hip_cuid_ffc079e26ff0f314,@object ; @__hip_cuid_ffc079e26ff0f314
	.section	.bss,"aw",@nobits
	.globl	__hip_cuid_ffc079e26ff0f314
__hip_cuid_ffc079e26ff0f314:
	.byte	0                               ; 0x0
	.size	__hip_cuid_ffc079e26ff0f314, 1

	.ident	"AMD clang version 19.0.0git (https://github.com/RadeonOpenCompute/llvm-project roc-6.4.0 25133 c7fe45cf4b819c5991fe208aaa96edf142730f1d)"
	.section	".note.GNU-stack","",@progbits
	.addrsig
	.addrsig_sym __hip_cuid_ffc079e26ff0f314
	.amdgpu_metadata
---
amdhsa.kernels:
  - .args:
      - .actual_access:  read_only
        .address_space:  global
        .offset:         0
        .size:           8
        .value_kind:     global_buffer
      - .address_space:  global
        .offset:         8
        .size:           8
        .value_kind:     global_buffer
      - .offset:         16
        .size:           8
        .value_kind:     by_value
      - .actual_access:  read_only
        .address_space:  global
        .offset:         24
        .size:           8
        .value_kind:     global_buffer
      - .actual_access:  read_only
        .address_space:  global
        .offset:         32
        .size:           8
        .value_kind:     global_buffer
      - .offset:         40
        .size:           8
        .value_kind:     by_value
      - .actual_access:  read_only
        .address_space:  global
        .offset:         48
        .size:           8
        .value_kind:     global_buffer
      - .actual_access:  read_only
        .address_space:  global
        .offset:         56
        .size:           8
        .value_kind:     global_buffer
      - .offset:         64
        .size:           4
        .value_kind:     by_value
      - .actual_access:  read_only
        .address_space:  global
        .offset:         72
        .size:           8
        .value_kind:     global_buffer
      - .actual_access:  read_only
        .address_space:  global
        .offset:         80
        .size:           8
        .value_kind:     global_buffer
      - .address_space:  global
        .offset:         88
        .size:           8
        .value_kind:     global_buffer
    .group_segment_fixed_size: 0
    .kernarg_segment_align: 8
    .kernarg_segment_size: 96
    .language:       OpenCL C
    .language_version:
      - 2
      - 0
    .max_flat_workgroup_size: 384
    .name:           fft_rtc_fwd_len72_factors_8_3_3_wgs_384_tpt_24_sp_ip_CI_sbcc
    .private_segment_fixed_size: 0
    .sgpr_count:     44
    .sgpr_spill_count: 0
    .symbol:         fft_rtc_fwd_len72_factors_8_3_3_wgs_384_tpt_24_sp_ip_CI_sbcc.kd
    .uniform_work_group_size: 1
    .uses_dynamic_stack: false
    .vgpr_count:     37
    .vgpr_spill_count: 0
    .wavefront_size: 32
    .workgroup_processor_mode: 1
amdhsa.target:   amdgcn-amd-amdhsa--gfx1030
amdhsa.version:
  - 1
  - 2
...

	.end_amdgpu_metadata
